;; amdgpu-corpus repo=ROCm/rocFFT kind=compiled arch=gfx950 opt=O3
	.text
	.amdgcn_target "amdgcn-amd-amdhsa--gfx950"
	.amdhsa_code_object_version 6
	.protected	fft_rtc_fwd_len100_factors_10_10_wgs_190_tpt_10_halfLds_dim1_sp_op_CI_CI_unitstride_sbrr_R2C_dirReg ; -- Begin function fft_rtc_fwd_len100_factors_10_10_wgs_190_tpt_10_halfLds_dim1_sp_op_CI_CI_unitstride_sbrr_R2C_dirReg
	.globl	fft_rtc_fwd_len100_factors_10_10_wgs_190_tpt_10_halfLds_dim1_sp_op_CI_CI_unitstride_sbrr_R2C_dirReg
	.p2align	8
	.type	fft_rtc_fwd_len100_factors_10_10_wgs_190_tpt_10_halfLds_dim1_sp_op_CI_CI_unitstride_sbrr_R2C_dirReg,@function
fft_rtc_fwd_len100_factors_10_10_wgs_190_tpt_10_halfLds_dim1_sp_op_CI_CI_unitstride_sbrr_R2C_dirReg: ; @fft_rtc_fwd_len100_factors_10_10_wgs_190_tpt_10_halfLds_dim1_sp_op_CI_CI_unitstride_sbrr_R2C_dirReg
; %bb.0:
	v_mul_u32_u24_e32 v1, 0x199a, v0
	v_lshrrev_b32_e32 v8, 16, v1
	v_mad_u64_u32 v[4:5], s[2:3], s2, 19, v[8:9]
	s_mov_b32 s2, 0xaf286bcb
	s_nop 0
	v_mul_hi_u32 v1, v4, s2
	s_load_dwordx2 s[6:7], s[0:1], 0x0
	s_load_dwordx2 s[8:9], s[0:1], 0x20
	v_sub_u32_e32 v2, v4, v1
	v_lshrrev_b32_e32 v2, 1, v2
	v_add_u32_e32 v1, v2, v1
	v_lshrrev_b32_e32 v1, 4, v1
	v_mov_b32_e32 v5, 0
	v_mul_lo_u32 v1, v1, 19
	s_movk_i32 s4, 0x199a
	v_sub_u32_e32 v6, v4, v1
	s_waitcnt lgkmcnt(0)
	v_cmp_gt_u64_e32 vcc, s[8:9], v[4:5]
	v_cmp_le_u64_e64 s[2:3], s[8:9], v[4:5]
                                        ; implicit-def: $vgpr3
                                        ; implicit-def: $vgpr2
                                        ; implicit-def: $vgpr1
	s_and_saveexec_b64 s[8:9], s[2:3]
	s_xor_b64 s[2:3], exec, s[8:9]
; %bb.1:
	v_mul_u32_u24_sdwa v1, v0, s4 dst_sel:DWORD dst_unused:UNUSED_PAD src0_sel:WORD_0 src1_sel:DWORD
	v_mov_b32_e32 v2, 10
	v_mul_lo_u16_sdwa v1, v1, v2 dst_sel:DWORD dst_unused:UNUSED_PAD src0_sel:WORD_1 src1_sel:DWORD
	v_sub_u16_e32 v2, v0, v1
	v_sub_u16_e32 v3, v0, v1
	v_or_b32_e32 v1, 0x50, v2
                                        ; implicit-def: $vgpr8
                                        ; implicit-def: $vgpr0
; %bb.2:
	s_or_saveexec_b64 s[2:3], s[2:3]
	s_load_dwordx2 s[4:5], s[0:1], 0x18
	v_mul_u32_u24_e32 v5, 0x65, v6
	v_lshlrev_b32_e32 v9, 3, v5
                                        ; implicit-def: $vgpr6
	s_xor_b64 exec, exec, s[2:3]
	s_cbranch_execz .LBB0_4
; %bb.3:
	s_load_dwordx2 s[8:9], s[0:1], 0x10
	s_load_dwordx2 s[10:11], s[0:1], 0x50
	v_mul_lo_u16_e32 v1, 10, v8
	v_sub_u16_e32 v2, v0, v1
	v_mov_b32_e32 v7, 0
	s_waitcnt lgkmcnt(0)
	s_load_dwordx2 s[8:9], s[8:9], 0x8
	v_lshlrev_b32_e32 v6, 3, v2
	v_sub_u16_e32 v3, v0, v1
	v_or_b32_e32 v1, 0x50, v2
	v_add3_u32 v0, 0, v9, v6
	s_waitcnt lgkmcnt(0)
	v_mad_u64_u32 v[10:11], s[12:13], s8, v4, 0
	v_mov_b32_e32 v8, v11
	v_mad_u64_u32 v[12:13], s[8:9], s9, v4, v[8:9]
	v_mov_b32_e32 v11, v12
	v_lshl_add_u64 v[10:11], v[10:11], 3, s[10:11]
	v_lshl_add_u64 v[10:11], v[10:11], 0, v[6:7]
	global_load_dwordx2 v[12:13], v[10:11], off
	global_load_dwordx2 v[14:15], v[10:11], off offset:80
	global_load_dwordx2 v[16:17], v[10:11], off offset:160
	;; [unrolled: 1-line block ×9, first 2 shown]
	v_mov_b32_e32 v6, v2
	s_waitcnt vmcnt(8)
	ds_write2_b64 v0, v[12:13], v[14:15] offset1:10
	s_waitcnt vmcnt(6)
	ds_write2_b64 v0, v[16:17], v[18:19] offset0:20 offset1:30
	s_waitcnt vmcnt(4)
	ds_write2_b64 v0, v[20:21], v[22:23] offset0:40 offset1:50
	;; [unrolled: 2-line block ×4, first 2 shown]
.LBB0_4:
	s_or_b64 exec, exec, s[2:3]
	v_lshlrev_b32_e32 v60, 3, v2
	v_add_u32_e32 v5, 0, v9
	v_add3_u32 v61, 0, v60, v9
	s_waitcnt lgkmcnt(0)
	s_load_dwordx2 s[4:5], s[4:5], 0x8
	s_waitcnt lgkmcnt(0)
	s_barrier
	v_add_u32_e32 v7, v5, v60
	ds_read2_b64 v[8:11], v61 offset0:10 offset1:20
	ds_read_b64 v[24:25], v7
	ds_read2_b64 v[12:15], v61 offset0:30 offset1:40
	ds_read2_b64 v[16:19], v61 offset0:50 offset1:60
	;; [unrolled: 1-line block ×3, first 2 shown]
	ds_read_b64 v[26:27], v61 offset:720
	s_waitcnt lgkmcnt(4)
	v_pk_add_f32 v[28:29], v[24:25], v[10:11]
	s_mov_b32 s8, 0x3f737871
	s_waitcnt lgkmcnt(2)
	v_pk_add_f32 v[30:31], v[14:15], v[18:19]
	s_waitcnt lgkmcnt(1)
	v_pk_add_f32 v[32:33], v[10:11], v[22:23] neg_lo:[0,1] neg_hi:[0,1]
	v_pk_add_f32 v[28:29], v[28:29], v[14:15]
	v_pk_fma_f32 v[30:31], v[30:31], 0.5, v[24:25] op_sel_hi:[1,0,1] neg_lo:[1,0,0] neg_hi:[1,0,0]
	v_pk_mul_f32 v[34:35], v[32:33], s[8:9] op_sel_hi:[1,0]
	v_pk_add_f32 v[36:37], v[14:15], v[18:19] neg_lo:[0,1] neg_hi:[0,1]
	s_mov_b32 s10, 0x3f167918
	v_pk_add_f32 v[40:41], v[10:11], v[14:15] neg_lo:[0,1] neg_hi:[0,1]
	v_pk_add_f32 v[42:43], v[22:23], v[18:19] neg_lo:[0,1] neg_hi:[0,1]
	v_pk_add_f32 v[28:29], v[28:29], v[18:19]
	v_pk_mul_f32 v[38:39], v[36:37], s[10:11] op_sel_hi:[1,0]
	v_pk_add_f32 v[40:41], v[40:41], v[42:43]
	v_pk_add_f32 v[42:43], v[30:31], v[34:35] op_sel:[0,1] op_sel_hi:[1,0]
	v_pk_add_f32 v[30:31], v[30:31], v[34:35] op_sel:[0,1] op_sel_hi:[1,0] neg_lo:[0,1] neg_hi:[0,1]
	v_pk_add_f32 v[28:29], v[28:29], v[22:23]
	v_pk_add_f32 v[30:31], v[30:31], v[38:39] op_sel:[0,1] op_sel_hi:[1,0] neg_lo:[0,1] neg_hi:[0,1]
	v_pk_add_f32 v[34:35], v[42:43], v[38:39] op_sel:[0,1] op_sel_hi:[1,0]
	v_pk_add_f32 v[38:39], v[10:11], v[22:23]
	v_pk_add_f32 v[10:11], v[14:15], v[10:11] neg_lo:[0,1] neg_hi:[0,1]
	v_pk_add_f32 v[14:15], v[18:19], v[22:23] neg_lo:[0,1] neg_hi:[0,1]
	v_pk_add_f32 v[18:19], v[16:17], v[20:21] neg_lo:[0,1] neg_hi:[0,1]
	s_waitcnt lgkmcnt(0)
	v_pk_add_f32 v[22:23], v[12:13], v[26:27]
	v_pk_fma_f32 v[24:25], v[38:39], 0.5, v[24:25] op_sel_hi:[1,0,1] neg_lo:[1,0,0] neg_hi:[1,0,0]
	v_pk_add_f32 v[10:11], v[10:11], v[14:15]
	v_pk_add_f32 v[14:15], v[12:13], v[26:27] neg_lo:[0,1] neg_hi:[0,1]
	v_pk_fma_f32 v[22:23], v[22:23], 0.5, v[8:9] op_sel_hi:[1,0,1] neg_lo:[1,0,0] neg_hi:[1,0,0]
	v_pk_mul_f32 v[38:39], v[18:19], s[8:9] op_sel_hi:[1,0]
	v_pk_add_f32 v[44:45], v[16:17], v[12:13] neg_lo:[0,1] neg_hi:[0,1]
	v_pk_add_f32 v[46:47], v[20:21], v[26:27] neg_lo:[0,1] neg_hi:[0,1]
	v_pk_mul_f32 v[42:43], v[14:15], s[10:11] op_sel_hi:[1,0]
	v_pk_add_f32 v[44:45], v[44:45], v[46:47]
	v_pk_add_f32 v[46:47], v[22:23], v[38:39] op_sel:[0,1] op_sel_hi:[1,0] neg_lo:[0,1] neg_hi:[0,1]
	v_pk_add_f32 v[22:23], v[22:23], v[38:39] op_sel:[0,1] op_sel_hi:[1,0]
	s_movk_i32 s2, 0x48
	v_pk_add_f32 v[22:23], v[22:23], v[42:43] op_sel:[0,1] op_sel_hi:[1,0] neg_lo:[0,1] neg_hi:[0,1]
	v_pk_add_f32 v[38:39], v[46:47], v[42:43] op_sel:[0,1] op_sel_hi:[1,0]
	v_mad_u32_u24 v0, v2, s2, v61
	s_mov_b32 s2, 0x3e9e377a
	v_mov_b32_e32 v42, v38
	v_mov_b32_e32 v43, v23
	v_pk_fma_f32 v[42:43], v[44:45], s[2:3], v[42:43] op_sel_hi:[1,0,1]
	v_pk_mul_f32 v[36:37], v[36:37], s[8:9] op_sel_hi:[1,0]
	v_pk_mul_f32 v[46:47], v[42:43], s[8:9] op_sel_hi:[1,0]
	;; [unrolled: 1-line block ×3, first 2 shown]
	v_pk_fma_f32 v[48:49], v[42:43], s[2:3], v[46:47] op_sel:[0,0,1] op_sel_hi:[1,0,0]
	v_pk_fma_f32 v[42:43], v[42:43], s[2:3], v[46:47] op_sel:[0,0,1] op_sel_hi:[1,0,0] neg_lo:[0,0,1] neg_hi:[0,0,1]
	v_mov_b32_e32 v23, v39
	v_mov_b32_e32 v49, v43
	v_pk_add_f32 v[42:43], v[24:25], v[36:37] op_sel:[0,1] op_sel_hi:[1,0] neg_lo:[0,1] neg_hi:[0,1]
	v_pk_add_f32 v[24:25], v[24:25], v[36:37] op_sel:[0,1] op_sel_hi:[1,0]
	v_pk_fma_f32 v[22:23], v[44:45], s[2:3], v[22:23] op_sel_hi:[1,0,1]
	v_pk_add_f32 v[24:25], v[24:25], v[32:33] op_sel:[0,1] op_sel_hi:[1,0] neg_lo:[0,1] neg_hi:[0,1]
	v_pk_add_f32 v[32:33], v[42:43], v[32:33] op_sel:[0,1] op_sel_hi:[1,0]
	v_mov_b32_e32 v39, v25
	v_mov_b32_e32 v38, v32
	s_mov_b32 s12, 0xbf737871
	s_mov_b32 s13, s8
	v_pk_mul_f32 v[44:45], v[22:23], s[2:3] op_sel_hi:[1,0]
	v_mov_b32_e32 v25, v33
	v_pk_fma_f32 v[38:39], v[10:11], s[2:3], v[38:39] op_sel_hi:[1,0,1]
	v_pk_fma_f32 v[22:23], v[22:23], s[12:13], v[44:45] op_sel:[0,0,1] op_sel_hi:[1,1,0] neg_lo:[0,0,1] neg_hi:[0,0,1]
	v_pk_fma_f32 v[10:11], v[10:11], s[2:3], v[24:25] op_sel_hi:[1,0,1]
	v_pk_add_f32 v[44:45], v[38:39], v[48:49]
	v_pk_add_f32 v[24:25], v[10:11], v[22:23] op_sel:[0,1] op_sel_hi:[1,0]
	v_pk_add_f32 v[46:47], v[8:9], v[12:13]
	s_barrier
	ds_write2_b64 v0, v[44:45], v[24:25] offset0:2 offset1:3
	v_pk_add_f32 v[24:25], v[16:17], v[20:21]
	v_pk_add_f32 v[46:47], v[46:47], v[16:17]
	v_pk_fma_f32 v[8:9], v[24:25], 0.5, v[8:9] op_sel_hi:[1,0,1] neg_lo:[1,0,0] neg_hi:[1,0,0]
	v_pk_mul_f32 v[14:15], v[14:15], s[8:9] op_sel_hi:[1,0]
	v_pk_add_f32 v[46:47], v[46:47], v[20:21]
	v_pk_add_f32 v[12:13], v[12:13], v[16:17] neg_lo:[0,1] neg_hi:[0,1]
	v_pk_add_f32 v[16:17], v[26:27], v[20:21] neg_lo:[0,1] neg_hi:[0,1]
	v_pk_add_f32 v[20:21], v[8:9], v[14:15] op_sel:[0,1] op_sel_hi:[1,0]
	v_pk_mul_f32 v[18:19], v[18:19], s[10:11] op_sel_hi:[1,0]
	v_pk_add_f32 v[8:9], v[8:9], v[14:15] op_sel:[0,1] op_sel_hi:[1,0] neg_lo:[0,1] neg_hi:[0,1]
	v_pk_add_f32 v[12:13], v[12:13], v[16:17]
	v_pk_add_f32 v[20:21], v[18:19], v[20:21] op_sel:[1,0] op_sel_hi:[0,1]
	v_pk_add_f32 v[8:9], v[8:9], v[18:19] op_sel:[0,1] op_sel_hi:[1,0] neg_lo:[0,1] neg_hi:[0,1]
	s_mov_b32 s16, 0x3f4f1bbd
	v_pk_fma_f32 v[14:15], v[12:13], s[2:3], v[8:9] op_sel_hi:[1,0,1]
	v_mov_b32_e32 v9, v21
	v_pk_fma_f32 v[8:9], v[12:13], s[2:3], v[8:9] op_sel_hi:[1,0,1]
	v_pk_fma_f32 v[24:25], v[12:13], s[2:3], v[20:21] op_sel_hi:[1,0,1]
	s_mov_b32 s14, 0xbf167918
	s_mov_b32 s15, s10
	v_pk_mul_f32 v[12:13], v[8:9], s[16:17] op_sel_hi:[1,0]
	s_mov_b32 s17, s10
	v_pk_fma_f32 v[8:9], v[8:9], s[14:15], v[12:13] op_sel:[0,0,1] op_sel_hi:[1,1,0] neg_lo:[0,0,1] neg_hi:[0,0,1]
	v_pk_mul_f32 v[12:13], v[24:25], s[16:17] op_sel_hi:[0,1]
	s_mov_b32 s11, s16
	v_mov_b32_e32 v42, v34
	v_mov_b32_e32 v43, v31
	;; [unrolled: 1-line block ×3, first 2 shown]
	v_pk_fma_f32 v[18:19], v[14:15], s[10:11], v[12:13] op_sel:[1,0,0]
	v_pk_fma_f32 v[12:13], v[14:15], s[10:11], v[12:13] op_sel:[1,0,0] neg_lo:[0,0,1] neg_hi:[0,0,1]
	v_pk_add_f32 v[46:47], v[46:47], v[26:27]
	v_pk_fma_f32 v[42:43], v[40:41], s[2:3], v[42:43] op_sel_hi:[1,0,1]
	v_pk_fma_f32 v[16:17], v[40:41], s[2:3], v[30:31] op_sel_hi:[1,0,1]
	v_mov_b32_e32 v19, v13
	v_pk_add_f32 v[36:37], v[28:29], v[46:47]
	v_pk_add_f32 v[12:13], v[42:43], v[18:19]
	v_pk_add_f32 v[14:15], v[16:17], v[8:9] op_sel:[1,0] op_sel_hi:[0,1]
	ds_write2_b64 v0, v[36:37], v[12:13] offset1:1
	v_pk_add_f32 v[12:13], v[28:29], v[46:47] neg_lo:[0,1] neg_hi:[0,1]
	v_mov_b32_e32 v20, v15
	v_mov_b32_e32 v21, v14
	ds_write2_b64 v0, v[20:21], v[12:13] offset0:4 offset1:5
	v_pk_add_f32 v[12:13], v[42:43], v[18:19] neg_lo:[0,1] neg_hi:[0,1]
	v_pk_add_f32 v[14:15], v[38:39], v[48:49] neg_lo:[0,1] neg_hi:[0,1]
	v_pk_add_f32 v[8:9], v[16:17], v[8:9] op_sel:[1,0] op_sel_hi:[0,1] neg_lo:[0,1] neg_hi:[0,1]
	ds_write2_b64 v0, v[12:13], v[14:15] offset0:6 offset1:7
	v_pk_add_f32 v[10:11], v[10:11], v[22:23] op_sel:[0,1] op_sel_hi:[1,0] neg_lo:[0,1] neg_hi:[0,1]
	v_mov_b32_e32 v12, v9
	v_mov_b32_e32 v13, v8
	ds_write2_b64 v0, v[10:11], v[12:13] offset0:8 offset1:9
	v_mul_u32_u24_e32 v0, 9, v2
	v_lshlrev_b32_e32 v0, 3, v0
	s_waitcnt lgkmcnt(0)
	s_barrier
	global_load_dwordx4 v[8:11], v0, s[6:7]
	global_load_dwordx4 v[12:15], v0, s[6:7] offset:16
	global_load_dwordx4 v[16:19], v0, s[6:7] offset:32
	global_load_dwordx4 v[20:23], v0, s[6:7] offset:48
	global_load_dwordx2 v[40:41], v0, s[6:7] offset:64
	ds_read2_b64 v[24:27], v61 offset0:10 offset1:20
	ds_read2_b64 v[28:31], v61 offset0:30 offset1:40
	;; [unrolled: 1-line block ×4, first 2 shown]
	ds_read_b64 v[42:43], v7
	ds_read_b64 v[44:45], v61 offset:720
	s_waitcnt lgkmcnt(0)
	s_barrier
	s_waitcnt vmcnt(4)
	v_pk_mul_f32 v[46:47], v[8:9], v[24:25] op_sel:[0,1]
	s_nop 0
	v_pk_fma_f32 v[48:49], v[8:9], v[24:25], v[46:47] op_sel:[0,0,1] op_sel_hi:[1,1,0] neg_lo:[0,0,1] neg_hi:[0,0,1]
	v_pk_fma_f32 v[8:9], v[8:9], v[24:25], v[46:47] op_sel:[0,0,1] op_sel_hi:[1,0,0]
	s_waitcnt vmcnt(2)
	v_mov_b32_e32 v0, v19
	v_mov_b32_e32 v49, v9
	v_pk_mul_f32 v[8:9], v[10:11], v[26:27] op_sel:[0,1]
	s_nop 0
	v_pk_fma_f32 v[24:25], v[10:11], v[26:27], v[8:9] op_sel:[0,0,1] op_sel_hi:[1,1,0] neg_lo:[0,0,1] neg_hi:[0,0,1]
	v_pk_fma_f32 v[8:9], v[10:11], v[26:27], v[8:9] op_sel:[0,0,1] op_sel_hi:[1,0,0]
	s_nop 0
	v_mov_b32_e32 v25, v9
	v_pk_mul_f32 v[8:9], v[12:13], v[28:29] op_sel:[0,1]
	s_nop 0
	v_pk_fma_f32 v[10:11], v[12:13], v[28:29], v[8:9] op_sel:[0,0,1] op_sel_hi:[1,1,0] neg_lo:[0,0,1] neg_hi:[0,0,1]
	v_pk_fma_f32 v[8:9], v[12:13], v[28:29], v[8:9] op_sel:[0,0,1] op_sel_hi:[1,0,0]
	s_nop 0
	v_mov_b32_e32 v11, v9
	v_pk_mul_f32 v[8:9], v[14:15], v[30:31] op_sel:[0,1]
	v_pk_add_f32 v[26:27], v[48:49], v[10:11]
	v_pk_fma_f32 v[12:13], v[14:15], v[30:31], v[8:9] op_sel:[0,0,1] op_sel_hi:[1,1,0] neg_lo:[0,0,1] neg_hi:[0,0,1]
	v_pk_fma_f32 v[8:9], v[14:15], v[30:31], v[8:9] op_sel:[0,0,1] op_sel_hi:[1,0,0]
	s_nop 0
	v_mov_b32_e32 v13, v9
	v_pk_mul_f32 v[8:9], v[16:17], v[32:33] op_sel:[0,1]
	s_nop 0
	v_pk_fma_f32 v[14:15], v[16:17], v[32:33], v[8:9] op_sel:[0,0,1] op_sel_hi:[1,1,0] neg_lo:[0,0,1] neg_hi:[0,0,1]
	v_pk_fma_f32 v[8:9], v[16:17], v[32:33], v[8:9] op_sel:[0,0,1] op_sel_hi:[1,0,0]
	s_nop 0
	v_mov_b32_e32 v15, v9
	v_pk_mul_f32 v[8:9], v[34:35], v[0:1] op_sel_hi:[1,0]
	s_waitcnt vmcnt(1)
	v_mov_b32_e32 v0, v23
	v_pk_fma_f32 v[16:17], v[34:35], v[18:19], v[8:9] op_sel:[0,0,1] op_sel_hi:[1,1,0] neg_lo:[0,0,1] neg_hi:[0,0,1]
	v_pk_fma_f32 v[8:9], v[34:35], v[18:19], v[8:9] op_sel:[0,0,1] op_sel_hi:[1,0,0]
	v_pk_add_f32 v[54:55], v[10:11], v[14:15] neg_lo:[0,1] neg_hi:[0,1]
	v_mov_b32_e32 v17, v9
	v_pk_mul_f32 v[8:9], v[36:37], v[20:21] op_sel:[0,1]
	v_pk_add_f32 v[30:31], v[12:13], v[16:17]
	v_pk_fma_f32 v[18:19], v[36:37], v[20:21], v[8:9] op_sel:[0,0,1] op_sel_hi:[1,1,0] neg_lo:[0,0,1] neg_hi:[0,0,1]
	v_pk_fma_f32 v[8:9], v[36:37], v[20:21], v[8:9] op_sel:[0,0,1] op_sel_hi:[1,0,0]
	v_pk_fma_f32 v[30:31], v[30:31], 0.5, v[42:43] op_sel_hi:[1,0,1] neg_lo:[1,0,0] neg_hi:[1,0,0]
	v_mov_b32_e32 v19, v9
	v_pk_mul_f32 v[8:9], v[38:39], v[0:1] op_sel_hi:[1,0]
	v_pk_add_f32 v[36:37], v[12:13], v[16:17] neg_lo:[0,1] neg_hi:[0,1]
	v_pk_fma_f32 v[20:21], v[38:39], v[22:23], v[8:9] op_sel:[0,0,1] op_sel_hi:[1,1,0] neg_lo:[0,0,1] neg_hi:[0,0,1]
	v_pk_fma_f32 v[8:9], v[38:39], v[22:23], v[8:9] op_sel:[0,0,1] op_sel_hi:[1,0,0]
	v_pk_mul_f32 v[38:39], v[36:37], s[10:11] op_sel_hi:[1,0]
	v_mov_b32_e32 v21, v9
	s_waitcnt vmcnt(0)
	v_pk_mul_f32 v[8:9], v[44:45], v[40:41] op_sel:[0,1]
	v_pk_add_f32 v[32:33], v[24:25], v[20:21] neg_lo:[0,1] neg_hi:[0,1]
	v_pk_fma_f32 v[22:23], v[44:45], v[40:41], v[8:9] op_sel:[0,0,1] op_sel_hi:[1,1,0] neg_lo:[0,0,1] neg_hi:[0,0,1]
	v_pk_fma_f32 v[8:9], v[44:45], v[40:41], v[8:9] op_sel:[0,0,1] op_sel_hi:[1,0,0]
	v_pk_mul_f32 v[34:35], v[32:33], s[8:9] op_sel_hi:[1,0]
	v_pk_add_f32 v[40:41], v[24:25], v[12:13] neg_lo:[0,1] neg_hi:[0,1]
	v_pk_add_f32 v[44:45], v[20:21], v[16:17] neg_lo:[0,1] neg_hi:[0,1]
	v_mov_b32_e32 v23, v9
	v_pk_add_f32 v[40:41], v[40:41], v[44:45]
	v_pk_add_f32 v[44:45], v[30:31], v[34:35] op_sel:[0,1] op_sel_hi:[1,0]
	v_pk_add_f32 v[30:31], v[30:31], v[34:35] op_sel:[0,1] op_sel_hi:[1,0] neg_lo:[0,1] neg_hi:[0,1]
	v_pk_add_f32 v[34:35], v[44:45], v[38:39] op_sel:[0,1] op_sel_hi:[1,0]
	v_pk_add_f32 v[30:31], v[30:31], v[38:39] op_sel:[0,1] op_sel_hi:[1,0] neg_lo:[0,1] neg_hi:[0,1]
	v_pk_add_f32 v[38:39], v[14:15], v[18:19]
	v_pk_add_f32 v[44:45], v[10:11], v[22:23] neg_lo:[0,1] neg_hi:[0,1]
	v_pk_fma_f32 v[38:39], v[38:39], 0.5, v[48:49] op_sel_hi:[1,0,1] neg_lo:[1,0,0] neg_hi:[1,0,0]
	v_pk_mul_f32 v[46:47], v[44:45], s[8:9] op_sel_hi:[1,0]
	v_pk_add_f32 v[50:51], v[14:15], v[18:19] neg_lo:[0,1] neg_hi:[0,1]
	v_pk_add_f32 v[56:57], v[22:23], v[18:19] neg_lo:[0,1] neg_hi:[0,1]
	v_pk_mul_f32 v[52:53], v[50:51], s[10:11] op_sel_hi:[1,0]
	v_pk_add_f32 v[54:55], v[54:55], v[56:57]
	v_pk_add_f32 v[56:57], v[38:39], v[46:47] op_sel:[0,1] op_sel_hi:[1,0]
	v_pk_add_f32 v[38:39], v[38:39], v[46:47] op_sel:[0,1] op_sel_hi:[1,0] neg_lo:[0,1] neg_hi:[0,1]
	v_pk_add_f32 v[46:47], v[56:57], v[52:53] op_sel:[0,1] op_sel_hi:[1,0]
	v_pk_add_f32 v[38:39], v[38:39], v[52:53] op_sel:[0,1] op_sel_hi:[1,0] neg_lo:[0,1] neg_hi:[0,1]
	v_mov_b32_e32 v52, v46
	v_mov_b32_e32 v53, v39
	v_pk_add_f32 v[8:9], v[42:43], v[24:25]
	v_pk_fma_f32 v[52:53], v[54:55], s[2:3], v[52:53] op_sel_hi:[1,0,1]
	v_pk_add_f32 v[8:9], v[8:9], v[12:13]
	v_pk_add_f32 v[26:27], v[26:27], v[14:15]
	v_pk_mul_f32 v[56:57], v[52:53], s[10:11] op_sel_hi:[1,0]
	v_pk_add_f32 v[8:9], v[8:9], v[16:17]
	v_pk_add_f32 v[26:27], v[26:27], v[18:19]
	v_pk_fma_f32 v[58:59], v[52:53], s[16:17], v[56:57] op_sel:[0,0,1] op_sel_hi:[1,0,0]
	v_pk_fma_f32 v[52:53], v[52:53], s[16:17], v[56:57] op_sel:[0,0,1] op_sel_hi:[1,0,0] neg_lo:[0,0,1] neg_hi:[0,0,1]
	v_mov_b32_e32 v56, v34
	v_mov_b32_e32 v57, v31
	v_pk_add_f32 v[8:9], v[8:9], v[20:21]
	v_pk_add_f32 v[26:27], v[26:27], v[22:23]
	v_pk_fma_f32 v[56:57], v[40:41], s[2:3], v[56:57] op_sel_hi:[1,0,1]
	v_mov_b32_e32 v59, v53
	v_pk_add_f32 v[28:29], v[8:9], v[26:27]
	v_pk_add_f32 v[52:53], v[56:57], v[58:59]
	v_pk_add_f32 v[12:13], v[12:13], v[24:25] neg_lo:[0,1] neg_hi:[0,1]
	v_pk_add_f32 v[16:17], v[16:17], v[20:21] neg_lo:[0,1] neg_hi:[0,1]
	ds_write2_b64 v61, v[28:29], v[52:53] offset1:10
	v_pk_add_f32 v[28:29], v[24:25], v[20:21]
	v_pk_add_f32 v[12:13], v[12:13], v[16:17]
	;; [unrolled: 1-line block ×3, first 2 shown]
	v_pk_add_f32 v[10:11], v[14:15], v[10:11] neg_lo:[0,1] neg_hi:[0,1]
	v_pk_add_f32 v[14:15], v[18:19], v[22:23] neg_lo:[0,1] neg_hi:[0,1]
	v_pk_fma_f32 v[28:29], v[28:29], 0.5, v[42:43] op_sel_hi:[1,0,1] neg_lo:[1,0,0] neg_hi:[1,0,0]
	v_pk_fma_f32 v[16:17], v[16:17], 0.5, v[48:49] op_sel_hi:[1,0,1] neg_lo:[1,0,0] neg_hi:[1,0,0]
	v_pk_add_f32 v[10:11], v[10:11], v[14:15]
	v_pk_mul_f32 v[14:15], v[36:37], s[8:9] op_sel_hi:[1,0]
	v_pk_mul_f32 v[22:23], v[50:51], s[8:9] op_sel_hi:[1,0]
	v_pk_add_f32 v[20:21], v[28:29], v[14:15] op_sel:[0,1] op_sel_hi:[1,0] neg_lo:[0,1] neg_hi:[0,1]
	v_pk_add_f32 v[14:15], v[28:29], v[14:15] op_sel:[0,1] op_sel_hi:[1,0]
	v_pk_mul_f32 v[24:25], v[44:45], s[10:11] op_sel_hi:[1,0]
	v_pk_add_f32 v[28:29], v[16:17], v[22:23] op_sel:[0,1] op_sel_hi:[1,0] neg_lo:[0,1] neg_hi:[0,1]
	v_pk_add_f32 v[16:17], v[16:17], v[22:23] op_sel:[0,1] op_sel_hi:[1,0]
	v_pk_add_f32 v[22:23], v[28:29], v[24:25] op_sel:[0,1] op_sel_hi:[1,0]
	v_pk_add_f32 v[16:17], v[16:17], v[24:25] op_sel:[0,1] op_sel_hi:[1,0] neg_lo:[0,1] neg_hi:[0,1]
	v_pk_mul_f32 v[18:19], v[32:33], s[10:11] op_sel_hi:[1,0]
	v_mov_b32_e32 v24, v22
	v_mov_b32_e32 v25, v17
	v_pk_add_f32 v[14:15], v[14:15], v[18:19] op_sel:[0,1] op_sel_hi:[1,0] neg_lo:[0,1] neg_hi:[0,1]
	v_pk_add_f32 v[18:19], v[20:21], v[18:19] op_sel:[0,1] op_sel_hi:[1,0]
	v_pk_fma_f32 v[24:25], v[10:11], s[2:3], v[24:25] op_sel_hi:[1,0,1]
	v_mov_b32_e32 v17, v23
	v_mov_b32_e32 v20, v18
	;; [unrolled: 1-line block ×3, first 2 shown]
	v_pk_mul_f32 v[28:29], v[24:25], s[8:9] op_sel_hi:[1,0]
	v_mov_b32_e32 v15, v19
	v_pk_fma_f32 v[10:11], v[10:11], s[2:3], v[16:17] op_sel_hi:[1,0,1]
	v_pk_fma_f32 v[20:21], v[12:13], s[2:3], v[20:21] op_sel_hi:[1,0,1]
	v_pk_fma_f32 v[32:33], v[24:25], s[2:3], v[28:29] op_sel:[0,0,1] op_sel_hi:[1,0,0]
	v_pk_fma_f32 v[24:25], v[24:25], s[2:3], v[28:29] op_sel:[0,0,1] op_sel_hi:[1,0,0] neg_lo:[0,0,1] neg_hi:[0,0,1]
	v_pk_fma_f32 v[12:13], v[12:13], s[2:3], v[14:15] op_sel_hi:[1,0,1]
	v_pk_mul_f32 v[14:15], v[10:11], s[2:3] op_sel_hi:[1,0]
	v_mov_b32_e32 v39, v47
	v_mov_b32_e32 v33, v25
	v_pk_fma_f32 v[10:11], v[10:11], s[12:13], v[14:15] op_sel:[0,0,1] op_sel_hi:[1,1,0] neg_lo:[0,0,1] neg_hi:[0,0,1]
	v_pk_fma_f32 v[16:17], v[54:55], s[2:3], v[38:39] op_sel_hi:[1,0,1]
	v_pk_add_f32 v[24:25], v[20:21], v[32:33]
	v_pk_add_f32 v[14:15], v[12:13], v[10:11] op_sel:[0,1] op_sel_hi:[1,0]
	v_mov_b32_e32 v31, v35
	v_pk_mul_f32 v[18:19], v[16:17], s[16:17] op_sel_hi:[1,0]
	ds_write2_b64 v61, v[24:25], v[14:15] offset0:20 offset1:30
	v_pk_fma_f32 v[14:15], v[40:41], s[2:3], v[30:31] op_sel_hi:[1,0,1]
	v_pk_fma_f32 v[16:17], v[16:17], s[14:15], v[18:19] op_sel:[0,0,1] op_sel_hi:[1,1,0] neg_lo:[0,0,1] neg_hi:[0,0,1]
	v_pk_add_f32 v[8:9], v[8:9], v[26:27] neg_lo:[0,1] neg_hi:[0,1]
	v_pk_add_f32 v[18:19], v[14:15], v[16:17] op_sel:[0,1] op_sel_hi:[1,0]
	ds_write2_b64 v61, v[18:19], v[8:9] offset0:40 offset1:50
	v_pk_add_f32 v[8:9], v[56:57], v[58:59] neg_lo:[0,1] neg_hi:[0,1]
	v_pk_add_f32 v[18:19], v[20:21], v[32:33] neg_lo:[0,1] neg_hi:[0,1]
	ds_write2_b64 v61, v[8:9], v[18:19] offset0:60 offset1:70
	v_lshl_add_u32 v8, v1, 3, v5
	v_pk_add_f32 v[0:1], v[12:13], v[10:11] op_sel:[0,1] op_sel_hi:[1,0] neg_lo:[0,1] neg_hi:[0,1]
	ds_write_b64 v8, v[0:1]
	v_pk_add_f32 v[0:1], v[14:15], v[16:17] op_sel:[0,1] op_sel_hi:[1,0] neg_lo:[0,1] neg_hi:[0,1]
	ds_write_b64 v61, v[0:1] offset:720
	s_waitcnt lgkmcnt(0)
	s_barrier
	ds_read_b64 v[10:11], v7
	v_sub_u32_e32 v12, v5, v60
	v_cmp_ne_u16_e64 s[2:3], 0, v3
                                        ; implicit-def: $vgpr1
                                        ; implicit-def: $vgpr8_vgpr9
	s_and_saveexec_b64 s[8:9], s[2:3]
	s_xor_b64 s[2:3], exec, s[8:9]
	s_cbranch_execz .LBB0_6
; %bb.5:
	v_mov_b32_e32 v0, 3
	v_lshlrev_b32_sdwa v0, v0, v3 dst_sel:DWORD dst_unused:UNUSED_PAD src0_sel:DWORD src1_sel:WORD_0
	global_load_dwordx2 v[8:9], v0, s[6:7] offset:720
	ds_read_b64 v[0:1], v12 offset:800
	v_mov_b32_e32 v15, 0.5
	v_mov_b32_e32 v16, v15
	s_waitcnt lgkmcnt(0)
	v_pk_add_f32 v[18:19], v[0:1], v[10:11]
	v_pk_add_f32 v[0:1], v[10:11], v[0:1] neg_lo:[0,1] neg_hi:[0,1]
	v_mov_b32_e32 v10, v19
	v_mov_b32_e32 v11, v0
	v_pk_mul_f32 v[10:11], v[10:11], 0.5 op_sel_hi:[1,0]
	s_waitcnt vmcnt(0)
	v_mov_b32_e32 v14, v9
	v_mov_b32_e32 v0, v11
	;; [unrolled: 1-line block ×4, first 2 shown]
	v_pk_mul_f32 v[0:1], v[14:15], v[0:1]
	v_pk_mul_f32 v[20:21], v[8:9], v[10:11] op_sel_hi:[0,1]
	v_pk_fma_f32 v[14:15], v[18:19], v[16:17], v[0:1]
	v_pk_fma_f32 v[16:17], v[18:19], v[16:17], v[0:1] neg_lo:[0,0,1] neg_hi:[0,0,1]
	v_pk_fma_f32 v[0:1], v[8:9], v[10:11], v[14:15] op_sel_hi:[0,1,1] neg_lo:[1,0,0] neg_hi:[1,0,0]
	v_pk_fma_f32 v[8:9], v[8:9], v[10:11], v[16:17] op_sel_hi:[0,1,1] neg_lo:[1,0,0] neg_hi:[1,0,0]
	v_add_f32_e32 v0, v14, v20
                                        ; implicit-def: $vgpr10_vgpr11
.LBB0_6:
	s_andn2_saveexec_b64 s[2:3], s[2:3]
	s_cbranch_execz .LBB0_8
; %bb.7:
	ds_read_b32 v1, v5 offset:404
	s_waitcnt lgkmcnt(1)
	v_mov_b32_e32 v8, v11
	v_pk_add_f32 v[8:9], v[10:11], v[8:9] neg_lo:[0,1] neg_hi:[0,1]
	v_add_f32_e32 v0, v11, v10
	v_mov_b32_e32 v9, 0
	s_waitcnt lgkmcnt(0)
	v_xor_b32_e32 v1, 0x80000000, v1
	ds_write_b32 v5, v1 offset:404
	v_mov_b32_e32 v1, v9
.LBB0_8:
	s_or_b64 exec, exec, s[2:3]
	s_add_u32 s2, s6, 0x2d0
	s_addc_u32 s3, s7, 0
	v_mov_b32_e32 v3, 0
	s_waitcnt lgkmcnt(0)
	v_lshl_add_u64 v[10:11], v[2:3], 3, s[2:3]
	global_load_dwordx2 v[14:15], v[10:11], off offset:80
	global_load_dwordx2 v[16:17], v[10:11], off offset:160
	global_load_dwordx2 v[18:19], v[10:11], off offset:240
	global_load_dwordx2 v[20:21], v[10:11], off offset:320
	ds_write_b64 v7, v[0:1]
	ds_write_b64 v12, v[8:9] offset:800
	ds_read_b64 v[0:1], v7 offset:80
	ds_read_b64 v[8:9], v12 offset:720
	v_mov_b32_e32 v11, 0.5
	v_mov_b32_e32 v22, v11
	s_waitcnt lgkmcnt(0)
	v_pk_add_f32 v[24:25], v[0:1], v[8:9]
	v_pk_add_f32 v[0:1], v[0:1], v[8:9] neg_lo:[0,1] neg_hi:[0,1]
	v_mov_b32_e32 v8, v25
	v_mov_b32_e32 v9, v0
	v_pk_mul_f32 v[8:9], v[8:9], 0.5 op_sel_hi:[1,0]
	s_waitcnt vmcnt(3)
	v_mov_b32_e32 v23, v15
	v_mov_b32_e32 v25, v8
	;; [unrolled: 1-line block ×4, first 2 shown]
	v_pk_mul_f32 v[22:23], v[24:25], v[22:23]
	s_nop 0
	v_pk_fma_f32 v[24:25], v[10:11], v[0:1], v[22:23] neg_lo:[1,0,0] neg_hi:[1,0,0]
	v_pk_fma_f32 v[0:1], v[10:11], v[0:1], v[22:23]
	v_pk_fma_f32 v[22:23], v[14:15], v[8:9], v[24:25] op_sel_hi:[0,1,1] neg_lo:[1,0,0] neg_hi:[1,0,0]
	v_pk_fma_f32 v[24:25], v[14:15], v[8:9], v[0:1] op_sel_hi:[0,1,1]
	v_pk_fma_f32 v[0:1], v[14:15], v[8:9], v[0:1] op_sel_hi:[0,1,1] neg_lo:[1,0,0] neg_hi:[1,0,0]
	v_mov_b32_e32 v25, v1
	ds_write_b64 v7, v[24:25] offset:80
	ds_write_b64 v12, v[22:23] offset:720
	ds_read_b64 v[0:1], v7 offset:160
	ds_read_b64 v[8:9], v12 offset:640
	v_mov_b32_e32 v14, v11
	s_waitcnt vmcnt(2)
	v_mov_b32_e32 v15, v17
	v_mov_b32_e32 v10, v17
	s_waitcnt lgkmcnt(0)
	v_pk_add_f32 v[22:23], v[0:1], v[8:9]
	v_pk_add_f32 v[0:1], v[0:1], v[8:9] neg_lo:[0,1] neg_hi:[0,1]
	v_mov_b32_e32 v8, v23
	v_mov_b32_e32 v9, v0
	v_pk_mul_f32 v[8:9], v[8:9], 0.5 op_sel_hi:[1,0]
	s_nop 0
	v_mov_b32_e32 v23, v8
	v_mov_b32_e32 v0, v9
	v_pk_mul_f32 v[14:15], v[22:23], v[14:15]
	s_nop 0
	v_pk_fma_f32 v[22:23], v[10:11], v[0:1], v[14:15] neg_lo:[1,0,0] neg_hi:[1,0,0]
	v_pk_fma_f32 v[0:1], v[10:11], v[0:1], v[14:15]
	v_pk_fma_f32 v[14:15], v[16:17], v[8:9], v[22:23] op_sel_hi:[0,1,1] neg_lo:[1,0,0] neg_hi:[1,0,0]
	v_pk_fma_f32 v[22:23], v[16:17], v[8:9], v[0:1] op_sel_hi:[0,1,1]
	v_pk_fma_f32 v[0:1], v[16:17], v[8:9], v[0:1] op_sel_hi:[0,1,1] neg_lo:[1,0,0] neg_hi:[1,0,0]
	v_mov_b32_e32 v23, v1
	ds_write_b64 v7, v[22:23] offset:160
	ds_write_b64 v12, v[14:15] offset:640
	ds_read_b64 v[0:1], v7 offset:240
	ds_read_b64 v[8:9], v12 offset:560
	v_mov_b32_e32 v14, v11
	s_waitcnt vmcnt(1)
	v_mov_b32_e32 v15, v19
	v_mov_b32_e32 v10, v19
	s_waitcnt lgkmcnt(0)
	v_pk_add_f32 v[16:17], v[0:1], v[8:9]
	v_pk_add_f32 v[0:1], v[0:1], v[8:9] neg_lo:[0,1] neg_hi:[0,1]
	v_mov_b32_e32 v8, v17
	v_mov_b32_e32 v9, v0
	v_pk_mul_f32 v[8:9], v[8:9], 0.5 op_sel_hi:[1,0]
	s_nop 0
	v_mov_b32_e32 v17, v8
	v_mov_b32_e32 v0, v9
	;; [unrolled: 25-line block ×3, first 2 shown]
	v_pk_mul_f32 v[14:15], v[16:17], v[14:15]
	s_nop 0
	v_pk_fma_f32 v[16:17], v[10:11], v[0:1], v[14:15] neg_lo:[1,0,0] neg_hi:[1,0,0]
	v_pk_fma_f32 v[0:1], v[10:11], v[0:1], v[14:15]
	v_pk_fma_f32 v[10:11], v[20:21], v[8:9], v[16:17] op_sel_hi:[0,1,1] neg_lo:[1,0,0] neg_hi:[1,0,0]
	v_pk_fma_f32 v[14:15], v[20:21], v[8:9], v[0:1] op_sel_hi:[0,1,1]
	v_pk_fma_f32 v[0:1], v[20:21], v[8:9], v[0:1] op_sel_hi:[0,1,1] neg_lo:[1,0,0] neg_hi:[1,0,0]
	v_mov_b32_e32 v15, v1
	ds_write_b64 v7, v[14:15] offset:320
	ds_write_b64 v12, v[10:11] offset:480
	s_waitcnt lgkmcnt(0)
	s_barrier
	s_and_saveexec_b64 s[2:3], vcc
	s_cbranch_execz .LBB0_11
; %bb.9:
	v_mad_u64_u32 v[0:1], s[2:3], s4, v4, 0
	s_load_dwordx2 s[0:1], s[0:1], 0x58
	v_mov_b32_e32 v2, v1
	v_mad_u64_u32 v[12:13], s[2:3], s5, v4, v[2:3]
	v_lshl_add_u32 v4, v6, 3, v5
	ds_read2_b64 v[8:11], v4 offset1:10
	v_mov_b32_e32 v1, v12
	v_mov_b32_e32 v7, v3
	s_waitcnt lgkmcnt(0)
	v_lshl_add_u64 v[0:1], v[0:1], 3, s[0:1]
	v_lshl_add_u64 v[12:13], v[6:7], 3, v[0:1]
	global_store_dwordx2 v[12:13], v[8:9], off
	ds_read2_b64 v[12:15], v4 offset0:20 offset1:30
	v_add_u32_e32 v2, 10, v6
	v_lshl_add_u64 v[8:9], v[2:3], 3, v[0:1]
	v_add_u32_e32 v2, 20, v6
	global_store_dwordx2 v[8:9], v[10:11], off
	v_lshl_add_u64 v[8:9], v[2:3], 3, v[0:1]
	s_waitcnt lgkmcnt(0)
	global_store_dwordx2 v[8:9], v[12:13], off
	ds_read2_b64 v[8:11], v4 offset0:40 offset1:50
	v_add_u32_e32 v2, 30, v6
	v_lshl_add_u64 v[12:13], v[2:3], 3, v[0:1]
	v_add_u32_e32 v2, 40, v6
	global_store_dwordx2 v[12:13], v[14:15], off
	v_lshl_add_u64 v[12:13], v[2:3], 3, v[0:1]
	s_waitcnt lgkmcnt(0)
	;; [unrolled: 8-line block ×3, first 2 shown]
	global_store_dwordx2 v[8:9], v[12:13], off
	ds_read2_b64 v[8:11], v4 offset0:80 offset1:90
	v_add_u32_e32 v2, 0x46, v6
	v_lshl_add_u64 v[12:13], v[2:3], 3, v[0:1]
	v_add_u32_e32 v2, 0x50, v6
	global_store_dwordx2 v[12:13], v[14:15], off
	v_lshl_add_u64 v[12:13], v[2:3], 3, v[0:1]
	v_add_u32_e32 v2, 0x5a, v6
	v_lshl_add_u64 v[2:3], v[2:3], 3, v[0:1]
	v_cmp_eq_u32_e32 vcc, 9, v6
	s_waitcnt lgkmcnt(0)
	global_store_dwordx2 v[12:13], v[8:9], off
	global_store_dwordx2 v[2:3], v[10:11], off
	s_and_b64 exec, exec, vcc
	s_cbranch_execz .LBB0_11
; %bb.10:
	ds_read_b64 v[2:3], v4 offset:728
	s_waitcnt lgkmcnt(0)
	global_store_dwordx2 v[0:1], v[2:3], off offset:800
.LBB0_11:
	s_endpgm
	.section	.rodata,"a",@progbits
	.p2align	6, 0x0
	.amdhsa_kernel fft_rtc_fwd_len100_factors_10_10_wgs_190_tpt_10_halfLds_dim1_sp_op_CI_CI_unitstride_sbrr_R2C_dirReg
		.amdhsa_group_segment_fixed_size 0
		.amdhsa_private_segment_fixed_size 0
		.amdhsa_kernarg_size 96
		.amdhsa_user_sgpr_count 2
		.amdhsa_user_sgpr_dispatch_ptr 0
		.amdhsa_user_sgpr_queue_ptr 0
		.amdhsa_user_sgpr_kernarg_segment_ptr 1
		.amdhsa_user_sgpr_dispatch_id 0
		.amdhsa_user_sgpr_kernarg_preload_length 0
		.amdhsa_user_sgpr_kernarg_preload_offset 0
		.amdhsa_user_sgpr_private_segment_size 0
		.amdhsa_uses_dynamic_stack 0
		.amdhsa_enable_private_segment 0
		.amdhsa_system_sgpr_workgroup_id_x 1
		.amdhsa_system_sgpr_workgroup_id_y 0
		.amdhsa_system_sgpr_workgroup_id_z 0
		.amdhsa_system_sgpr_workgroup_info 0
		.amdhsa_system_vgpr_workitem_id 0
		.amdhsa_next_free_vgpr 62
		.amdhsa_next_free_sgpr 18
		.amdhsa_accum_offset 64
		.amdhsa_reserve_vcc 1
		.amdhsa_float_round_mode_32 0
		.amdhsa_float_round_mode_16_64 0
		.amdhsa_float_denorm_mode_32 3
		.amdhsa_float_denorm_mode_16_64 3
		.amdhsa_dx10_clamp 1
		.amdhsa_ieee_mode 1
		.amdhsa_fp16_overflow 0
		.amdhsa_tg_split 0
		.amdhsa_exception_fp_ieee_invalid_op 0
		.amdhsa_exception_fp_denorm_src 0
		.amdhsa_exception_fp_ieee_div_zero 0
		.amdhsa_exception_fp_ieee_overflow 0
		.amdhsa_exception_fp_ieee_underflow 0
		.amdhsa_exception_fp_ieee_inexact 0
		.amdhsa_exception_int_div_zero 0
	.end_amdhsa_kernel
	.text
.Lfunc_end0:
	.size	fft_rtc_fwd_len100_factors_10_10_wgs_190_tpt_10_halfLds_dim1_sp_op_CI_CI_unitstride_sbrr_R2C_dirReg, .Lfunc_end0-fft_rtc_fwd_len100_factors_10_10_wgs_190_tpt_10_halfLds_dim1_sp_op_CI_CI_unitstride_sbrr_R2C_dirReg
                                        ; -- End function
	.section	.AMDGPU.csdata,"",@progbits
; Kernel info:
; codeLenInByte = 3920
; NumSgprs: 24
; NumVgprs: 62
; NumAgprs: 0
; TotalNumVgprs: 62
; ScratchSize: 0
; MemoryBound: 0
; FloatMode: 240
; IeeeMode: 1
; LDSByteSize: 0 bytes/workgroup (compile time only)
; SGPRBlocks: 2
; VGPRBlocks: 7
; NumSGPRsForWavesPerEU: 24
; NumVGPRsForWavesPerEU: 62
; AccumOffset: 64
; Occupancy: 8
; WaveLimiterHint : 1
; COMPUTE_PGM_RSRC2:SCRATCH_EN: 0
; COMPUTE_PGM_RSRC2:USER_SGPR: 2
; COMPUTE_PGM_RSRC2:TRAP_HANDLER: 0
; COMPUTE_PGM_RSRC2:TGID_X_EN: 1
; COMPUTE_PGM_RSRC2:TGID_Y_EN: 0
; COMPUTE_PGM_RSRC2:TGID_Z_EN: 0
; COMPUTE_PGM_RSRC2:TIDIG_COMP_CNT: 0
; COMPUTE_PGM_RSRC3_GFX90A:ACCUM_OFFSET: 15
; COMPUTE_PGM_RSRC3_GFX90A:TG_SPLIT: 0
	.text
	.p2alignl 6, 3212836864
	.fill 256, 4, 3212836864
	.type	__hip_cuid_98ecc709cb3115f1,@object ; @__hip_cuid_98ecc709cb3115f1
	.section	.bss,"aw",@nobits
	.globl	__hip_cuid_98ecc709cb3115f1
__hip_cuid_98ecc709cb3115f1:
	.byte	0                               ; 0x0
	.size	__hip_cuid_98ecc709cb3115f1, 1

	.ident	"AMD clang version 19.0.0git (https://github.com/RadeonOpenCompute/llvm-project roc-6.4.0 25133 c7fe45cf4b819c5991fe208aaa96edf142730f1d)"
	.section	".note.GNU-stack","",@progbits
	.addrsig
	.addrsig_sym __hip_cuid_98ecc709cb3115f1
	.amdgpu_metadata
---
amdhsa.kernels:
  - .agpr_count:     0
    .args:
      - .actual_access:  read_only
        .address_space:  global
        .offset:         0
        .size:           8
        .value_kind:     global_buffer
      - .actual_access:  read_only
        .address_space:  global
        .offset:         8
        .size:           8
        .value_kind:     global_buffer
      - .actual_access:  read_only
        .address_space:  global
        .offset:         16
        .size:           8
        .value_kind:     global_buffer
      - .actual_access:  read_only
        .address_space:  global
        .offset:         24
        .size:           8
        .value_kind:     global_buffer
      - .offset:         32
        .size:           8
        .value_kind:     by_value
      - .actual_access:  read_only
        .address_space:  global
        .offset:         40
        .size:           8
        .value_kind:     global_buffer
      - .actual_access:  read_only
        .address_space:  global
        .offset:         48
        .size:           8
        .value_kind:     global_buffer
      - .offset:         56
        .size:           4
        .value_kind:     by_value
      - .actual_access:  read_only
        .address_space:  global
        .offset:         64
        .size:           8
        .value_kind:     global_buffer
      - .actual_access:  read_only
        .address_space:  global
        .offset:         72
        .size:           8
        .value_kind:     global_buffer
      - .actual_access:  read_only
        .address_space:  global
        .offset:         80
        .size:           8
        .value_kind:     global_buffer
      - .actual_access:  write_only
        .address_space:  global
        .offset:         88
        .size:           8
        .value_kind:     global_buffer
    .group_segment_fixed_size: 0
    .kernarg_segment_align: 8
    .kernarg_segment_size: 96
    .language:       OpenCL C
    .language_version:
      - 2
      - 0
    .max_flat_workgroup_size: 190
    .name:           fft_rtc_fwd_len100_factors_10_10_wgs_190_tpt_10_halfLds_dim1_sp_op_CI_CI_unitstride_sbrr_R2C_dirReg
    .private_segment_fixed_size: 0
    .sgpr_count:     24
    .sgpr_spill_count: 0
    .symbol:         fft_rtc_fwd_len100_factors_10_10_wgs_190_tpt_10_halfLds_dim1_sp_op_CI_CI_unitstride_sbrr_R2C_dirReg.kd
    .uniform_work_group_size: 1
    .uses_dynamic_stack: false
    .vgpr_count:     62
    .vgpr_spill_count: 0
    .wavefront_size: 64
amdhsa.target:   amdgcn-amd-amdhsa--gfx950
amdhsa.version:
  - 1
  - 2
...

	.end_amdgpu_metadata
